;; amdgpu-corpus repo=ROCm/rocFFT kind=compiled arch=gfx1201 opt=O3
	.text
	.amdgcn_target "amdgcn-amd-amdhsa--gfx1201"
	.amdhsa_code_object_version 6
	.protected	fft_rtc_back_len4096_factors_16_16_16_wgs_256_tpt_256_halfLds_dp_ip_CI_unitstride_sbrr_R2C_dirReg ; -- Begin function fft_rtc_back_len4096_factors_16_16_16_wgs_256_tpt_256_halfLds_dp_ip_CI_unitstride_sbrr_R2C_dirReg
	.globl	fft_rtc_back_len4096_factors_16_16_16_wgs_256_tpt_256_halfLds_dp_ip_CI_unitstride_sbrr_R2C_dirReg
	.p2align	8
	.type	fft_rtc_back_len4096_factors_16_16_16_wgs_256_tpt_256_halfLds_dp_ip_CI_unitstride_sbrr_R2C_dirReg,@function
fft_rtc_back_len4096_factors_16_16_16_wgs_256_tpt_256_halfLds_dp_ip_CI_unitstride_sbrr_R2C_dirReg: ; @fft_rtc_back_len4096_factors_16_16_16_wgs_256_tpt_256_halfLds_dp_ip_CI_unitstride_sbrr_R2C_dirReg
; %bb.0:
	s_clause 0x2
	s_load_b128 s[4:7], s[0:1], 0x0
	s_load_b64 s[8:9], s[0:1], 0x50
	s_load_b64 s[10:11], s[0:1], 0x18
	v_mov_b32_e32 v3, 0
	v_mov_b32_e32 v1, 0
	v_dual_mov_b32 v2, 0 :: v_dual_mov_b32 v5, ttmp9
	s_mov_b32 s3, 0
	s_delay_alu instid0(VALU_DEP_3) | instskip(SKIP_2) | instid1(VALU_DEP_1)
	v_mov_b32_e32 v6, v3
	s_wait_kmcnt 0x0
	v_cmp_lt_u64_e64 s2, s[6:7], 2
	s_and_b32 vcc_lo, exec_lo, s2
	s_cbranch_vccnz .LBB0_8
; %bb.1:
	s_load_b64 s[14:15], s[0:1], 0x10
	v_mov_b32_e32 v1, 0
	v_mov_b32_e32 v2, 0
	s_add_nc_u64 s[12:13], s[10:11], 8
	s_mov_b64 s[16:17], 1
	s_wait_kmcnt 0x0
	s_add_nc_u64 s[14:15], s[14:15], 8
.LBB0_2:                                ; =>This Inner Loop Header: Depth=1
	s_load_b64 s[18:19], s[14:15], 0x0
                                        ; implicit-def: $vgpr7_vgpr8
	s_mov_b32 s2, exec_lo
	s_wait_kmcnt 0x0
	v_or_b32_e32 v4, s19, v6
	s_delay_alu instid0(VALU_DEP_1)
	v_cmpx_ne_u64_e32 0, v[3:4]
	s_wait_alu 0xfffe
	s_xor_b32 s20, exec_lo, s2
	s_cbranch_execz .LBB0_4
; %bb.3:                                ;   in Loop: Header=BB0_2 Depth=1
	s_cvt_f32_u32 s2, s18
	s_cvt_f32_u32 s21, s19
	s_sub_nc_u64 s[24:25], 0, s[18:19]
	s_wait_alu 0xfffe
	s_delay_alu instid0(SALU_CYCLE_1) | instskip(SKIP_1) | instid1(SALU_CYCLE_2)
	s_fmamk_f32 s2, s21, 0x4f800000, s2
	s_wait_alu 0xfffe
	v_s_rcp_f32 s2, s2
	s_delay_alu instid0(TRANS32_DEP_1) | instskip(SKIP_1) | instid1(SALU_CYCLE_2)
	s_mul_f32 s2, s2, 0x5f7ffffc
	s_wait_alu 0xfffe
	s_mul_f32 s21, s2, 0x2f800000
	s_wait_alu 0xfffe
	s_delay_alu instid0(SALU_CYCLE_2) | instskip(SKIP_1) | instid1(SALU_CYCLE_2)
	s_trunc_f32 s21, s21
	s_wait_alu 0xfffe
	s_fmamk_f32 s2, s21, 0xcf800000, s2
	s_cvt_u32_f32 s23, s21
	s_wait_alu 0xfffe
	s_delay_alu instid0(SALU_CYCLE_1) | instskip(SKIP_1) | instid1(SALU_CYCLE_2)
	s_cvt_u32_f32 s22, s2
	s_wait_alu 0xfffe
	s_mul_u64 s[26:27], s[24:25], s[22:23]
	s_wait_alu 0xfffe
	s_mul_hi_u32 s29, s22, s27
	s_mul_i32 s28, s22, s27
	s_mul_hi_u32 s2, s22, s26
	s_mul_i32 s30, s23, s26
	s_wait_alu 0xfffe
	s_add_nc_u64 s[28:29], s[2:3], s[28:29]
	s_mul_hi_u32 s21, s23, s26
	s_mul_hi_u32 s31, s23, s27
	s_add_co_u32 s2, s28, s30
	s_wait_alu 0xfffe
	s_add_co_ci_u32 s2, s29, s21
	s_mul_i32 s26, s23, s27
	s_add_co_ci_u32 s27, s31, 0
	s_wait_alu 0xfffe
	s_add_nc_u64 s[26:27], s[2:3], s[26:27]
	s_wait_alu 0xfffe
	v_add_co_u32 v4, s2, s22, s26
	s_delay_alu instid0(VALU_DEP_1) | instskip(SKIP_1) | instid1(VALU_DEP_1)
	s_cmp_lg_u32 s2, 0
	s_add_co_ci_u32 s23, s23, s27
	v_readfirstlane_b32 s22, v4
	s_wait_alu 0xfffe
	s_delay_alu instid0(VALU_DEP_1)
	s_mul_u64 s[24:25], s[24:25], s[22:23]
	s_wait_alu 0xfffe
	s_mul_hi_u32 s27, s22, s25
	s_mul_i32 s26, s22, s25
	s_mul_hi_u32 s2, s22, s24
	s_mul_i32 s28, s23, s24
	s_wait_alu 0xfffe
	s_add_nc_u64 s[26:27], s[2:3], s[26:27]
	s_mul_hi_u32 s21, s23, s24
	s_mul_hi_u32 s22, s23, s25
	s_wait_alu 0xfffe
	s_add_co_u32 s2, s26, s28
	s_add_co_ci_u32 s2, s27, s21
	s_mul_i32 s24, s23, s25
	s_add_co_ci_u32 s25, s22, 0
	s_wait_alu 0xfffe
	s_add_nc_u64 s[24:25], s[2:3], s[24:25]
	s_wait_alu 0xfffe
	v_add_co_u32 v4, s2, v4, s24
	s_delay_alu instid0(VALU_DEP_1) | instskip(SKIP_1) | instid1(VALU_DEP_1)
	s_cmp_lg_u32 s2, 0
	s_add_co_ci_u32 s2, s23, s25
	v_mul_hi_u32 v13, v5, v4
	s_wait_alu 0xfffe
	v_mad_co_u64_u32 v[7:8], null, v5, s2, 0
	v_mad_co_u64_u32 v[9:10], null, v6, v4, 0
	;; [unrolled: 1-line block ×3, first 2 shown]
	s_delay_alu instid0(VALU_DEP_3) | instskip(SKIP_1) | instid1(VALU_DEP_4)
	v_add_co_u32 v4, vcc_lo, v13, v7
	s_wait_alu 0xfffd
	v_add_co_ci_u32_e32 v7, vcc_lo, 0, v8, vcc_lo
	s_delay_alu instid0(VALU_DEP_2) | instskip(SKIP_1) | instid1(VALU_DEP_2)
	v_add_co_u32 v4, vcc_lo, v4, v9
	s_wait_alu 0xfffd
	v_add_co_ci_u32_e32 v4, vcc_lo, v7, v10, vcc_lo
	s_wait_alu 0xfffd
	v_add_co_ci_u32_e32 v7, vcc_lo, 0, v12, vcc_lo
	s_delay_alu instid0(VALU_DEP_2) | instskip(SKIP_1) | instid1(VALU_DEP_2)
	v_add_co_u32 v4, vcc_lo, v4, v11
	s_wait_alu 0xfffd
	v_add_co_ci_u32_e32 v9, vcc_lo, 0, v7, vcc_lo
	s_delay_alu instid0(VALU_DEP_2) | instskip(SKIP_1) | instid1(VALU_DEP_3)
	v_mul_lo_u32 v10, s19, v4
	v_mad_co_u64_u32 v[7:8], null, s18, v4, 0
	v_mul_lo_u32 v11, s18, v9
	s_delay_alu instid0(VALU_DEP_2) | instskip(NEXT) | instid1(VALU_DEP_2)
	v_sub_co_u32 v7, vcc_lo, v5, v7
	v_add3_u32 v8, v8, v11, v10
	s_delay_alu instid0(VALU_DEP_1) | instskip(SKIP_1) | instid1(VALU_DEP_1)
	v_sub_nc_u32_e32 v10, v6, v8
	s_wait_alu 0xfffd
	v_subrev_co_ci_u32_e64 v10, s2, s19, v10, vcc_lo
	v_add_co_u32 v11, s2, v4, 2
	s_wait_alu 0xf1ff
	v_add_co_ci_u32_e64 v12, s2, 0, v9, s2
	v_sub_co_u32 v13, s2, v7, s18
	v_sub_co_ci_u32_e32 v8, vcc_lo, v6, v8, vcc_lo
	s_wait_alu 0xf1ff
	v_subrev_co_ci_u32_e64 v10, s2, 0, v10, s2
	s_delay_alu instid0(VALU_DEP_3) | instskip(NEXT) | instid1(VALU_DEP_3)
	v_cmp_le_u32_e32 vcc_lo, s18, v13
	v_cmp_eq_u32_e64 s2, s19, v8
	s_wait_alu 0xfffd
	v_cndmask_b32_e64 v13, 0, -1, vcc_lo
	v_cmp_le_u32_e32 vcc_lo, s19, v10
	s_wait_alu 0xfffd
	v_cndmask_b32_e64 v14, 0, -1, vcc_lo
	v_cmp_le_u32_e32 vcc_lo, s18, v7
	;; [unrolled: 3-line block ×3, first 2 shown]
	s_wait_alu 0xfffd
	v_cndmask_b32_e64 v15, 0, -1, vcc_lo
	v_cmp_eq_u32_e32 vcc_lo, s19, v10
	s_wait_alu 0xf1ff
	s_delay_alu instid0(VALU_DEP_2)
	v_cndmask_b32_e64 v7, v15, v7, s2
	s_wait_alu 0xfffd
	v_cndmask_b32_e32 v10, v14, v13, vcc_lo
	v_add_co_u32 v13, vcc_lo, v4, 1
	s_wait_alu 0xfffd
	v_add_co_ci_u32_e32 v14, vcc_lo, 0, v9, vcc_lo
	s_delay_alu instid0(VALU_DEP_3) | instskip(SKIP_2) | instid1(VALU_DEP_3)
	v_cmp_ne_u32_e32 vcc_lo, 0, v10
	s_wait_alu 0xfffd
	v_cndmask_b32_e32 v10, v13, v11, vcc_lo
	v_cndmask_b32_e32 v8, v14, v12, vcc_lo
	v_cmp_ne_u32_e32 vcc_lo, 0, v7
	s_wait_alu 0xfffd
	s_delay_alu instid0(VALU_DEP_2)
	v_dual_cndmask_b32 v7, v4, v10 :: v_dual_cndmask_b32 v8, v9, v8
.LBB0_4:                                ;   in Loop: Header=BB0_2 Depth=1
	s_wait_alu 0xfffe
	s_and_not1_saveexec_b32 s2, s20
	s_cbranch_execz .LBB0_6
; %bb.5:                                ;   in Loop: Header=BB0_2 Depth=1
	v_cvt_f32_u32_e32 v4, s18
	s_sub_co_i32 s20, 0, s18
	s_delay_alu instid0(VALU_DEP_1) | instskip(NEXT) | instid1(TRANS32_DEP_1)
	v_rcp_iflag_f32_e32 v4, v4
	v_mul_f32_e32 v4, 0x4f7ffffe, v4
	s_delay_alu instid0(VALU_DEP_1) | instskip(SKIP_1) | instid1(VALU_DEP_1)
	v_cvt_u32_f32_e32 v4, v4
	s_wait_alu 0xfffe
	v_mul_lo_u32 v7, s20, v4
	s_delay_alu instid0(VALU_DEP_1) | instskip(NEXT) | instid1(VALU_DEP_1)
	v_mul_hi_u32 v7, v4, v7
	v_add_nc_u32_e32 v4, v4, v7
	s_delay_alu instid0(VALU_DEP_1) | instskip(NEXT) | instid1(VALU_DEP_1)
	v_mul_hi_u32 v4, v5, v4
	v_mul_lo_u32 v7, v4, s18
	v_add_nc_u32_e32 v8, 1, v4
	s_delay_alu instid0(VALU_DEP_2) | instskip(NEXT) | instid1(VALU_DEP_1)
	v_sub_nc_u32_e32 v7, v5, v7
	v_subrev_nc_u32_e32 v9, s18, v7
	v_cmp_le_u32_e32 vcc_lo, s18, v7
	s_wait_alu 0xfffd
	s_delay_alu instid0(VALU_DEP_2) | instskip(NEXT) | instid1(VALU_DEP_1)
	v_dual_cndmask_b32 v7, v7, v9 :: v_dual_cndmask_b32 v4, v4, v8
	v_cmp_le_u32_e32 vcc_lo, s18, v7
	s_delay_alu instid0(VALU_DEP_2) | instskip(SKIP_1) | instid1(VALU_DEP_1)
	v_add_nc_u32_e32 v8, 1, v4
	s_wait_alu 0xfffd
	v_dual_cndmask_b32 v7, v4, v8 :: v_dual_mov_b32 v8, v3
.LBB0_6:                                ;   in Loop: Header=BB0_2 Depth=1
	s_wait_alu 0xfffe
	s_or_b32 exec_lo, exec_lo, s2
	s_load_b64 s[20:21], s[12:13], 0x0
	s_delay_alu instid0(VALU_DEP_1)
	v_mul_lo_u32 v4, v8, s18
	v_mul_lo_u32 v11, v7, s19
	v_mad_co_u64_u32 v[9:10], null, v7, s18, 0
	s_add_nc_u64 s[16:17], s[16:17], 1
	s_add_nc_u64 s[12:13], s[12:13], 8
	s_wait_alu 0xfffe
	v_cmp_ge_u64_e64 s2, s[16:17], s[6:7]
	s_add_nc_u64 s[14:15], s[14:15], 8
	s_delay_alu instid0(VALU_DEP_2) | instskip(NEXT) | instid1(VALU_DEP_3)
	v_add3_u32 v4, v10, v11, v4
	v_sub_co_u32 v5, vcc_lo, v5, v9
	s_wait_alu 0xfffd
	s_delay_alu instid0(VALU_DEP_2) | instskip(SKIP_3) | instid1(VALU_DEP_2)
	v_sub_co_ci_u32_e32 v4, vcc_lo, v6, v4, vcc_lo
	s_and_b32 vcc_lo, exec_lo, s2
	s_wait_kmcnt 0x0
	v_mul_lo_u32 v6, s21, v5
	v_mul_lo_u32 v4, s20, v4
	v_mad_co_u64_u32 v[1:2], null, s20, v5, v[1:2]
	s_delay_alu instid0(VALU_DEP_1)
	v_add3_u32 v2, v6, v2, v4
	s_wait_alu 0xfffe
	s_cbranch_vccnz .LBB0_9
; %bb.7:                                ;   in Loop: Header=BB0_2 Depth=1
	v_dual_mov_b32 v5, v7 :: v_dual_mov_b32 v6, v8
	s_branch .LBB0_2
.LBB0_8:
	v_dual_mov_b32 v8, v6 :: v_dual_mov_b32 v7, v5
.LBB0_9:
	s_lshl_b64 s[2:3], s[6:7], 3
	v_or_b32_e32 v6, 0x100, v0
	s_wait_alu 0xfffe
	s_add_nc_u64 s[2:3], s[10:11], s[2:3]
	v_or_b32_e32 v14, 0x200, v0
	s_load_b64 s[2:3], s[2:3], 0x0
	s_load_b64 s[0:1], s[0:1], 0x20
	v_or_b32_e32 v13, 0x300, v0
	v_or_b32_e32 v12, 0x400, v0
	;; [unrolled: 1-line block ×12, first 2 shown]
	s_wait_kmcnt 0x0
	v_mul_lo_u32 v3, s2, v8
	v_mul_lo_u32 v9, s3, v7
	v_mad_co_u64_u32 v[1:2], null, s2, v7, v[1:2]
	v_cmp_gt_u64_e32 vcc_lo, s[0:1], v[7:8]
	v_cmp_le_u64_e64 s0, s[0:1], v[7:8]
	s_delay_alu instid0(VALU_DEP_3) | instskip(SKIP_1) | instid1(VALU_DEP_3)
	v_add3_u32 v2, v9, v2, v3
	v_or_b32_e32 v3, 0xf00, v0
	s_and_saveexec_b32 s1, s0
	s_wait_alu 0xfffe
	s_xor_b32 s0, exec_lo, s1
	s_cbranch_execz .LBB0_11
; %bb.10:
	v_or_b32_e32 v6, 0x100, v0
	v_or_b32_e32 v14, 0x200, v0
	v_or_b32_e32 v13, 0x300, v0
	v_or_b32_e32 v12, 0x400, v0
	v_or_b32_e32 v11, 0x500, v0
	v_or_b32_e32 v10, 0x600, v0
	v_or_b32_e32 v5, 0x700, v0
	v_or_b32_e32 v22, 0x800, v0
	v_or_b32_e32 v19, 0x900, v0
	v_or_b32_e32 v18, 0xa00, v0
	v_or_b32_e32 v17, 0xb00, v0
	v_or_b32_e32 v16, 0xc00, v0
	v_or_b32_e32 v15, 0xd00, v0
	v_or_b32_e32 v4, 0xe00, v0
	v_or_b32_e32 v3, 0xf00, v0
.LBB0_11:
	s_wait_alu 0xfffe
	s_or_saveexec_b32 s1, s0
	v_lshlrev_b64_e32 v[8:9], 4, v[1:2]
	v_lshlrev_b32_e32 v20, 4, v0
	s_wait_alu 0xfffe
	s_xor_b32 exec_lo, exec_lo, s1
	s_cbranch_execz .LBB0_13
; %bb.12:
	s_delay_alu instid0(VALU_DEP_2) | instskip(SKIP_3) | instid1(VALU_DEP_3)
	v_add_co_u32 v7, s0, s8, v8
	s_wait_alu 0xf1ff
	v_add_co_ci_u32_e64 v21, s0, s9, v9, s0
	v_lshlrev_b32_e32 v87, 4, v13
	v_add_co_u32 v1, s0, v7, v20
	v_lshlrev_b32_e32 v88, 4, v5
	s_wait_alu 0xf1ff
	v_add_co_ci_u32_e64 v2, s0, 0, v21, s0
	v_add_co_u32 v47, s0, v7, v87
	v_lshlrev_b32_e32 v89, 4, v17
	s_wait_alu 0xf1ff
	v_add_co_ci_u32_e64 v48, s0, 0, v21, s0
	;; [unrolled: 4-line block ×3, first 2 shown]
	v_add_co_u32 v79, s0, v7, v89
	s_wait_alu 0xf1ff
	v_add_co_ci_u32_e64 v80, s0, 0, v21, s0
	v_add_co_u32 v83, s0, v7, v90
	s_wait_alu 0xf1ff
	v_add_co_ci_u32_e64 v84, s0, 0, v21, s0
	s_clause 0xf
	global_load_b128 v[23:26], v[1:2], off
	global_load_b128 v[27:30], v[1:2], off offset:4096
	global_load_b128 v[31:34], v[1:2], off offset:8192
	;; [unrolled: 1-line block ×5, first 2 shown]
	global_load_b128 v[47:50], v[47:48], off
	global_load_b128 v[51:54], v[51:52], off
	global_load_b128 v[55:58], v[1:2], off offset:32768
	global_load_b128 v[59:62], v[1:2], off offset:36864
	;; [unrolled: 1-line block ×6, first 2 shown]
	global_load_b128 v[79:82], v[79:80], off
	global_load_b128 v[83:86], v[83:84], off
	v_add_nc_u32_e32 v1, 0, v20
	v_add_nc_u32_e32 v2, 0, v87
	;; [unrolled: 1-line block ×5, first 2 shown]
	s_wait_loadcnt 0xf
	ds_store_b128 v1, v[23:26]
	s_wait_loadcnt 0xe
	ds_store_b128 v1, v[27:30] offset:4096
	s_wait_loadcnt 0xd
	ds_store_b128 v1, v[31:34] offset:8192
	;; [unrolled: 2-line block ×5, first 2 shown]
	s_wait_loadcnt 0x9
	ds_store_b128 v2, v[47:50]
	s_wait_loadcnt 0x8
	ds_store_b128 v7, v[51:54]
	s_wait_loadcnt 0x7
	ds_store_b128 v1, v[55:58] offset:32768
	s_wait_loadcnt 0x6
	ds_store_b128 v1, v[59:62] offset:36864
	;; [unrolled: 2-line block ×6, first 2 shown]
	s_wait_loadcnt 0x1
	ds_store_b128 v21, v[79:82]
	s_wait_loadcnt 0x0
	ds_store_b128 v87, v[83:86]
.LBB0_13:
	s_or_b32 exec_lo, exec_lo, s1
	v_add_nc_u32_e32 v21, 0, v20
	global_wb scope:SCOPE_SE
	s_wait_dscnt 0x0
	s_barrier_signal -1
	s_barrier_wait -1
	global_inv scope:SCOPE_SE
	ds_load_b128 v[23:26], v21 offset:32768
	ds_load_b128 v[27:30], v21 offset:16384
	;; [unrolled: 1-line block ×4, first 2 shown]
	ds_load_b128 v[39:42], v21
	ds_load_b128 v[43:46], v21 offset:40960
	ds_load_b128 v[47:50], v21 offset:4096
	;; [unrolled: 1-line block ×11, first 2 shown]
	s_mov_b32 s0, 0x667f3bcd
	s_mov_b32 s1, 0xbfe6a09e
	;; [unrolled: 1-line block ×3, first 2 shown]
	s_wait_alu 0xfffe
	s_mov_b32 s2, s0
	s_mov_b32 s6, 0xcf328d46
	;; [unrolled: 1-line block ×4, first 2 shown]
	s_wait_alu 0xfffe
	s_mov_b32 s14, s6
	s_wait_dscnt 0xb
	v_add_f64_e64 v[1:2], v[39:40], -v[23:24]
	v_add_f64_e64 v[23:24], v[41:42], -v[25:26]
	;; [unrolled: 1-line block ×4, first 2 shown]
	s_wait_dscnt 0xa
	v_add_f64_e64 v[33:34], v[35:36], -v[43:44]
	v_add_f64_e64 v[43:44], v[37:38], -v[45:46]
	s_wait_dscnt 0x8
	v_add_f64_e64 v[45:46], v[47:48], -v[51:52]
	s_wait_dscnt 0x6
	;; [unrolled: 2-line block ×4, first 2 shown]
	v_add_f64_e64 v[67:68], v[77:78], -v[73:74]
	v_add_f64_e64 v[53:54], v[49:50], -v[53:54]
	;; [unrolled: 1-line block ×5, first 2 shown]
	s_wait_dscnt 0x0
	v_add_f64_e64 v[73:74], v[81:82], -v[85:86]
	v_add_f64_e64 v[83:84], v[79:80], -v[83:84]
	s_mov_b32 s10, 0xa6aea964
	s_mov_b32 s11, 0x3fd87de2
	s_mov_b32 s13, 0xbfd87de2
	s_mov_b32 s12, s10
	global_wb scope:SCOPE_SE
	s_barrier_signal -1
	s_barrier_wait -1
	global_inv scope:SCOPE_SE
	v_lshl_add_u32 v4, v4, 4, 0
	v_lshl_add_u32 v3, v3, 4, 0
	;; [unrolled: 1-line block ×6, first 2 shown]
	v_fma_f64 v[39:40], v[39:40], 2.0, -v[1:2]
	v_fma_f64 v[41:42], v[41:42], 2.0, -v[23:24]
	v_add_f64_e64 v[91:92], v[23:24], -v[25:26]
	v_add_f64_e32 v[89:90], v[1:2], v[31:32]
	v_fma_f64 v[25:26], v[27:28], 2.0, -v[25:26]
	v_fma_f64 v[27:28], v[29:30], 2.0, -v[31:32]
	;; [unrolled: 1-line block ×3, first 2 shown]
	v_add_f64_e32 v[85:86], v[45:46], v[51:52]
	v_fma_f64 v[31:32], v[37:38], 2.0, -v[43:44]
	v_add_f64_e32 v[87:88], v[61:62], v[67:68]
	v_fma_f64 v[47:48], v[47:48], 2.0, -v[45:46]
	v_add_f64_e64 v[93:94], v[53:54], -v[59:60]
	v_fma_f64 v[49:50], v[49:50], 2.0, -v[53:54]
	v_add_f64_e64 v[95:96], v[69:70], -v[71:72]
	v_add_f64_e32 v[97:98], v[33:34], v[73:74]
	v_add_f64_e64 v[99:100], v[43:44], -v[83:84]
	v_fma_f64 v[35:36], v[79:80], 2.0, -v[83:84]
	v_fma_f64 v[37:38], v[81:82], 2.0, -v[73:74]
	;; [unrolled: 1-line block ×10, first 2 shown]
	v_add_f64_e64 v[25:26], v[39:40], -v[25:26]
	v_add_f64_e64 v[27:28], v[41:42], -v[27:28]
	v_fma_f64 v[45:46], v[45:46], 2.0, -v[85:86]
	v_fma_f64 v[61:62], v[61:62], 2.0, -v[87:88]
	v_fma_f64 v[73:74], v[87:88], s[2:3], v[85:86]
	v_fma_f64 v[53:54], v[53:54], 2.0, -v[93:94]
	v_fma_f64 v[67:68], v[69:70], 2.0, -v[95:96]
	;; [unrolled: 1-line block ×4, first 2 shown]
	v_add_f64_e64 v[35:36], v[29:30], -v[35:36]
	v_add_f64_e64 v[37:38], v[31:32], -v[37:38]
	;; [unrolled: 1-line block ×4, first 2 shown]
	v_fma_f64 v[69:70], v[97:98], s[2:3], v[89:90]
	v_add_f64_e64 v[59:60], v[57:58], -v[59:60]
	v_fma_f64 v[71:72], v[99:100], s[2:3], v[91:92]
	v_add_f64_e64 v[65:66], v[63:64], -v[65:66]
	v_fma_f64 v[75:76], v[95:96], s[2:3], v[93:94]
	v_fma_f64 v[39:40], v[39:40], 2.0, -v[25:26]
	v_fma_f64 v[41:42], v[41:42], 2.0, -v[27:28]
	v_fma_f64 v[77:78], v[61:62], s[0:1], v[45:46]
	v_fma_f64 v[73:74], v[95:96], s[2:3], v[73:74]
	;; [unrolled: 1-line block ×5, first 2 shown]
	v_add_f64_e64 v[103:104], v[27:28], -v[35:36]
	v_add_f64_e32 v[101:102], v[25:26], v[37:38]
	v_fma_f64 v[29:30], v[29:30], 2.0, -v[35:36]
	v_fma_f64 v[31:32], v[31:32], 2.0, -v[37:38]
	v_fma_f64 v[69:70], v[99:100], s[2:3], v[69:70]
	v_add_f64_e32 v[99:100], v[55:56], v[59:60]
	v_fma_f64 v[71:72], v[97:98], s[0:1], v[71:72]
	v_add_f64_e64 v[97:98], v[51:52], -v[65:66]
	v_fma_f64 v[75:76], v[87:88], s[0:1], v[75:76]
	v_fma_f64 v[35:36], v[47:48], 2.0, -v[55:56]
	v_fma_f64 v[37:38], v[49:50], 2.0, -v[51:52]
	;; [unrolled: 1-line block ×4, first 2 shown]
	v_fma_f64 v[57:58], v[67:68], s[2:3], v[77:78]
	v_fma_f64 v[59:60], v[61:62], s[0:1], v[79:80]
	;; [unrolled: 1-line block ×4, first 2 shown]
	v_fma_f64 v[81:82], v[27:28], 2.0, -v[103:104]
	v_fma_f64 v[67:68], v[25:26], 2.0, -v[101:102]
	v_add_f64_e64 v[63:64], v[39:40], -v[29:30]
	v_add_f64_e64 v[65:66], v[41:42], -v[31:32]
	v_fma_f64 v[83:84], v[89:90], 2.0, -v[69:70]
	v_fma_f64 v[43:44], v[55:56], 2.0, -v[99:100]
	;; [unrolled: 1-line block ×6, first 2 shown]
	v_fma_f64 v[25:26], v[97:98], s[2:3], v[103:104]
	v_add_f64_e64 v[33:34], v[35:36], -v[47:48]
	v_add_f64_e64 v[31:32], v[37:38], -v[49:50]
	v_fma_f64 v[27:28], v[73:74], s[14:15], v[69:70]
	v_fma_f64 v[29:30], v[75:76], s[14:15], v[71:72]
	v_fma_f64 v[87:88], v[45:46], 2.0, -v[57:58]
	v_fma_f64 v[53:54], v[53:54], 2.0, -v[59:60]
	v_fma_f64 v[1:2], v[1:2], 2.0, -v[77:78]
	v_fma_f64 v[89:90], v[23:24], 2.0, -v[79:80]
	v_fma_f64 v[23:24], v[99:100], s[2:3], v[101:102]
	v_fma_f64 v[93:94], v[59:60], s[10:11], v[79:80]
	;; [unrolled: 1-line block ×3, first 2 shown]
	v_fma_f64 v[105:106], v[39:40], 2.0, -v[63:64]
	v_fma_f64 v[107:108], v[41:42], 2.0, -v[65:66]
	v_fma_f64 v[45:46], v[43:44], s[0:1], v[67:68]
	v_fma_f64 v[49:50], v[55:56], s[12:13], v[83:84]
	;; [unrolled: 1-line block ×5, first 2 shown]
	v_fma_f64 v[109:110], v[35:36], 2.0, -v[33:34]
	v_fma_f64 v[111:112], v[37:38], 2.0, -v[31:32]
	v_fma_f64 v[27:28], v[75:76], s[10:11], v[27:28]
	v_fma_f64 v[29:30], v[73:74], s[12:13], v[29:30]
	v_add_f64_e32 v[31:32], v[63:64], v[31:32]
	v_add_f64_e64 v[33:34], v[65:66], -v[33:34]
	v_fma_f64 v[113:114], v[87:88], s[6:7], v[1:2]
	v_fma_f64 v[115:116], v[53:54], s[6:7], v[89:90]
	;; [unrolled: 1-line block ×9, first 2 shown]
	v_add_f64_e64 v[47:48], v[105:106], -v[109:110]
	v_add_f64_e64 v[49:50], v[107:108], -v[111:112]
	v_fma_f64 v[57:58], v[103:104], 2.0, -v[25:26]
	v_fma_f64 v[59:60], v[69:70], 2.0, -v[27:28]
	v_fma_f64 v[61:62], v[71:72], 2.0, -v[29:30]
	v_fma_f64 v[63:64], v[63:64], 2.0, -v[31:32]
	v_fma_f64 v[65:66], v[65:66], 2.0, -v[33:34]
	v_fma_f64 v[51:52], v[53:54], s[10:11], v[113:114]
	v_fma_f64 v[53:54], v[87:88], s[12:13], v[115:116]
	v_fma_f64 v[55:56], v[101:102], 2.0, -v[23:24]
	v_fma_f64 v[67:68], v[67:68], 2.0, -v[35:36]
	;; [unrolled: 1-line block ×11, first 2 shown]
	v_and_b32_e32 v1, 15, v0
	v_mad_u32_u24 v2, 0xf0, v0, v21
	ds_store_b128 v2, v[23:26] offset:224
	ds_store_b128 v2, v[27:30] offset:240
	;; [unrolled: 1-line block ×14, first 2 shown]
	ds_store_b128 v2, v[79:82]
	ds_store_b128 v2, v[83:86] offset:16
	v_mul_u32_u24_e32 v1, 15, v1
	global_wb scope:SCOPE_SE
	s_wait_dscnt 0x0
	s_barrier_signal -1
	s_barrier_wait -1
	global_inv scope:SCOPE_SE
	v_lshlrev_b32_e32 v1, 4, v1
	s_clause 0xe
	global_load_b128 v[23:26], v1, s[4:5]
	global_load_b128 v[27:30], v1, s[4:5] offset:16
	global_load_b128 v[31:34], v1, s[4:5] offset:32
	global_load_b128 v[35:38], v1, s[4:5] offset:48
	global_load_b128 v[39:42], v1, s[4:5] offset:64
	global_load_b128 v[43:46], v1, s[4:5] offset:80
	global_load_b128 v[47:50], v1, s[4:5] offset:96
	global_load_b128 v[51:54], v1, s[4:5] offset:112
	global_load_b128 v[55:58], v1, s[4:5] offset:128
	global_load_b128 v[59:62], v1, s[4:5] offset:144
	global_load_b128 v[63:66], v1, s[4:5] offset:176
	global_load_b128 v[67:70], v1, s[4:5] offset:192
	global_load_b128 v[71:74], v1, s[4:5] offset:160
	global_load_b128 v[75:78], v1, s[4:5] offset:224
	global_load_b128 v[79:82], v1, s[4:5] offset:208
	ds_load_b128 v[83:86], v21 offset:4096
	ds_load_b128 v[87:90], v21
	ds_load_b128 v[91:94], v21 offset:8192
	ds_load_b128 v[95:98], v21 offset:12288
	s_wait_loadcnt_dscnt 0xe03
	v_mul_f64_e32 v[1:2], v[85:86], v[25:26]
	v_mul_f64_e32 v[25:26], v[83:84], v[25:26]
	s_wait_loadcnt_dscnt 0xd01
	v_mul_f64_e32 v[99:100], v[93:94], v[29:30]
	v_mul_f64_e32 v[29:30], v[91:92], v[29:30]
	;; [unrolled: 3-line block ×3, first 2 shown]
	v_fma_f64 v[1:2], v[83:84], v[23:24], v[1:2]
	v_fma_f64 v[103:104], v[85:86], v[23:24], -v[25:26]
	ds_load_b128 v[23:26], v21 offset:16384
	ds_load_b128 v[83:86], v21 offset:20480
	v_fma_f64 v[91:92], v[91:92], v[27:28], v[99:100]
	v_fma_f64 v[93:94], v[93:94], v[27:28], -v[29:30]
	v_fma_f64 v[95:96], v[95:96], v[31:32], v[101:102]
	v_fma_f64 v[97:98], v[97:98], v[31:32], -v[33:34]
	ds_load_b128 v[27:30], v21 offset:24576
	ds_load_b128 v[31:34], v21 offset:28672
	s_wait_loadcnt_dscnt 0xb03
	v_mul_f64_e32 v[105:106], v[25:26], v[37:38]
	v_mul_f64_e32 v[37:38], v[23:24], v[37:38]
	s_wait_loadcnt_dscnt 0xa02
	v_mul_f64_e32 v[99:100], v[85:86], v[41:42]
	v_mul_f64_e32 v[41:42], v[83:84], v[41:42]
	s_wait_loadcnt_dscnt 0x901
	v_mul_f64_e32 v[101:102], v[29:30], v[45:46]
	v_mul_f64_e32 v[45:46], v[27:28], v[45:46]
	s_wait_loadcnt_dscnt 0x800
	v_mul_f64_e32 v[109:110], v[33:34], v[49:50]
	v_mul_f64_e32 v[49:50], v[31:32], v[49:50]
	v_fma_f64 v[105:106], v[23:24], v[35:36], v[105:106]
	v_fma_f64 v[107:108], v[25:26], v[35:36], -v[37:38]
	ds_load_b128 v[23:26], v21 offset:32768
	ds_load_b128 v[35:38], v21 offset:36864
	v_fma_f64 v[83:84], v[83:84], v[39:40], v[99:100]
	v_fma_f64 v[39:40], v[85:86], v[39:40], -v[41:42]
	v_fma_f64 v[85:86], v[27:28], v[43:44], v[101:102]
	v_fma_f64 v[43:44], v[29:30], v[43:44], -v[45:46]
	;; [unrolled: 2-line block ×3, first 2 shown]
	ds_load_b128 v[27:30], v21 offset:40960
	ds_load_b128 v[31:34], v21 offset:45056
	s_wait_loadcnt_dscnt 0x703
	v_mul_f64_e32 v[41:42], v[25:26], v[53:54]
	v_mul_f64_e32 v[45:46], v[23:24], v[53:54]
	s_wait_loadcnt_dscnt 0x602
	v_mul_f64_e32 v[53:54], v[37:38], v[57:58]
	v_mul_f64_e32 v[49:50], v[35:36], v[57:58]
	s_wait_loadcnt_dscnt 0x501
	v_mul_f64_e32 v[57:58], v[29:30], v[61:62]
	v_fma_f64 v[41:42], v[23:24], v[51:52], v[41:42]
	v_fma_f64 v[45:46], v[25:26], v[51:52], -v[45:46]
	ds_load_b128 v[23:26], v21 offset:49152
	v_mul_f64_e32 v[51:52], v[27:28], v[61:62]
	v_fma_f64 v[53:54], v[35:36], v[55:56], v[53:54]
	v_fma_f64 v[49:50], v[37:38], v[55:56], -v[49:50]
	ds_load_b128 v[35:38], v21 offset:53248
	v_fma_f64 v[57:58], v[27:28], v[59:60], v[57:58]
	s_wait_loadcnt_dscnt 0x401
	v_mul_f64_e32 v[55:56], v[25:26], v[65:66]
	v_mul_f64_e32 v[61:62], v[23:24], v[65:66]
	s_wait_loadcnt_dscnt 0x300
	v_mul_f64_e32 v[65:66], v[37:38], v[69:70]
	v_add_f64_e64 v[41:42], v[87:88], -v[41:42]
	v_add_f64_e64 v[45:46], v[89:90], -v[45:46]
	v_fma_f64 v[51:52], v[29:30], v[59:60], -v[51:52]
	v_mul_f64_e32 v[59:60], v[35:36], v[69:70]
	ds_load_b128 v[27:30], v21 offset:61440
	v_add_f64_e64 v[53:54], v[1:2], -v[53:54]
	v_add_f64_e64 v[49:50], v[103:104], -v[49:50]
	;; [unrolled: 1-line block ×3, first 2 shown]
	v_fma_f64 v[55:56], v[23:24], v[63:64], v[55:56]
	v_fma_f64 v[61:62], v[25:26], v[63:64], -v[61:62]
	ds_load_b128 v[23:26], v21 offset:57344
	s_wait_loadcnt 0x2
	v_mul_f64_e32 v[63:64], v[33:34], v[73:74]
	s_wait_loadcnt_dscnt 0x101
	v_mul_f64_e32 v[69:70], v[27:28], v[77:78]
	v_mul_f64_e32 v[73:74], v[31:32], v[73:74]
	v_fma_f64 v[35:36], v[35:36], v[67:68], v[65:66]
	global_wb scope:SCOPE_SE
	s_wait_loadcnt_dscnt 0x0
	s_barrier_signal -1
	s_barrier_wait -1
	global_inv scope:SCOPE_SE
	v_add_f64_e64 v[51:52], v[93:94], -v[51:52]
	v_fma_f64 v[37:38], v[37:38], v[67:68], -v[59:60]
	v_mul_f64_e32 v[59:60], v[29:30], v[77:78]
	v_mul_f64_e32 v[65:66], v[23:24], v[81:82]
	v_mul_f64_e32 v[67:68], v[25:26], v[81:82]
	v_fma_f64 v[77:78], v[87:88], 2.0, -v[41:42]
	v_fma_f64 v[81:82], v[91:92], 2.0, -v[57:58]
	;; [unrolled: 1-line block ×3, first 2 shown]
	v_add_f64_e64 v[55:56], v[105:106], -v[55:56]
	v_fma_f64 v[31:32], v[31:32], v[71:72], v[63:64]
	v_fma_f64 v[29:30], v[29:30], v[75:76], -v[69:70]
	v_fma_f64 v[33:34], v[33:34], v[71:72], -v[73:74]
	v_add_f64_e64 v[35:36], v[83:84], -v[35:36]
	v_fma_f64 v[87:88], v[93:94], 2.0, -v[51:52]
	v_add_f64_e64 v[37:38], v[39:40], -v[37:38]
	v_fma_f64 v[27:28], v[27:28], v[75:76], v[59:60]
	v_fma_f64 v[25:26], v[25:26], v[79:80], -v[65:66]
	v_fma_f64 v[23:24], v[23:24], v[79:80], v[67:68]
	v_add_f64_e64 v[59:60], v[107:108], -v[61:62]
	v_fma_f64 v[79:80], v[89:90], 2.0, -v[45:46]
	v_add_f64_e64 v[67:68], v[45:46], -v[55:56]
	v_fma_f64 v[55:56], v[105:106], 2.0, -v[55:56]
	v_add_f64_e64 v[31:32], v[95:96], -v[31:32]
	v_add_f64_e64 v[29:30], v[47:48], -v[29:30]
	;; [unrolled: 1-line block ×4, first 2 shown]
	v_fma_f64 v[35:36], v[83:84], 2.0, -v[35:36]
	v_add_f64_e32 v[61:62], v[53:54], v[37:38]
	v_add_f64_e64 v[27:28], v[99:100], -v[27:28]
	v_add_f64_e64 v[25:26], v[43:44], -v[25:26]
	;; [unrolled: 1-line block ×3, first 2 shown]
	v_add_f64_e32 v[65:66], v[41:42], v[59:60]
	v_fma_f64 v[59:60], v[107:108], 2.0, -v[59:60]
	v_fma_f64 v[37:38], v[39:40], 2.0, -v[37:38]
	;; [unrolled: 1-line block ×3, first 2 shown]
	v_add_f64_e64 v[55:56], v[77:78], -v[55:56]
	v_add_f64_e32 v[63:64], v[31:32], v[29:30]
	v_fma_f64 v[39:40], v[97:98], 2.0, -v[33:34]
	v_fma_f64 v[29:30], v[47:48], 2.0, -v[29:30]
	;; [unrolled: 1-line block ×3, first 2 shown]
	v_add_f64_e64 v[35:36], v[1:2], -v[35:36]
	v_fma_f64 v[53:54], v[53:54], 2.0, -v[61:62]
	v_add_f64_e64 v[71:72], v[33:34], -v[27:28]
	v_add_f64_e32 v[73:74], v[57:58], v[25:26]
	v_add_f64_e64 v[75:76], v[51:52], -v[23:24]
	v_fma_f64 v[23:24], v[85:86], 2.0, -v[23:24]
	v_fma_f64 v[25:26], v[43:44], 2.0, -v[25:26]
	;; [unrolled: 1-line block ×6, first 2 shown]
	v_add_f64_e64 v[59:60], v[79:80], -v[59:60]
	v_fma_f64 v[77:78], v[77:78], 2.0, -v[55:56]
	v_fma_f64 v[31:32], v[31:32], 2.0, -v[63:64]
	v_fma_f64 v[89:90], v[63:64], s[2:3], v[61:62]
	v_add_f64_e64 v[29:30], v[39:40], -v[29:30]
	v_fma_f64 v[1:2], v[1:2], 2.0, -v[35:36]
	v_fma_f64 v[33:34], v[33:34], 2.0, -v[71:72]
	;; [unrolled: 1-line block ×4, first 2 shown]
	v_add_f64_e64 v[23:24], v[81:82], -v[23:24]
	v_add_f64_e64 v[25:26], v[87:88], -v[25:26]
	;; [unrolled: 1-line block ×3, first 2 shown]
	v_fma_f64 v[83:84], v[73:74], s[2:3], v[65:66]
	v_fma_f64 v[85:86], v[75:76], s[2:3], v[67:68]
	v_add_f64_e64 v[27:28], v[47:48], -v[27:28]
	v_fma_f64 v[91:92], v[71:72], s[2:3], v[69:70]
	v_fma_f64 v[79:80], v[79:80], 2.0, -v[59:60]
	v_fma_f64 v[93:94], v[31:32], s[0:1], v[53:54]
	v_fma_f64 v[71:72], v[71:72], s[2:3], v[89:90]
	;; [unrolled: 1-line block ×5, first 2 shown]
	v_add_f64_e64 v[103:104], v[59:60], -v[23:24]
	v_add_f64_e32 v[101:102], v[55:56], v[25:26]
	v_fma_f64 v[23:24], v[81:82], 2.0, -v[23:24]
	v_fma_f64 v[75:76], v[75:76], s[2:3], v[83:84]
	v_add_f64_e32 v[83:84], v[35:36], v[29:30]
	v_fma_f64 v[73:74], v[73:74], s[0:1], v[85:86]
	v_add_f64_e64 v[85:86], v[37:38], -v[27:28]
	v_fma_f64 v[63:64], v[63:64], s[0:1], v[91:92]
	v_fma_f64 v[25:26], v[87:88], 2.0, -v[25:26]
	v_fma_f64 v[43:44], v[43:44], 2.0, -v[37:38]
	;; [unrolled: 1-line block ×4, first 2 shown]
	v_fma_f64 v[47:48], v[33:34], s[2:3], v[93:94]
	v_fma_f64 v[81:82], v[31:32], s[0:1], v[95:96]
	;; [unrolled: 1-line block ×4, first 2 shown]
	v_fma_f64 v[93:94], v[59:60], 2.0, -v[103:104]
	v_fma_f64 v[91:92], v[55:56], 2.0, -v[101:102]
	v_fma_f64 v[51:52], v[61:62], 2.0, -v[71:72]
	v_fma_f64 v[95:96], v[65:66], 2.0, -v[75:76]
	v_fma_f64 v[39:40], v[35:36], 2.0, -v[83:84]
	v_fma_f64 v[97:98], v[67:68], 2.0, -v[73:74]
	v_fma_f64 v[35:36], v[37:38], 2.0, -v[85:86]
	v_fma_f64 v[55:56], v[69:70], 2.0, -v[63:64]
	v_add_f64_e64 v[65:66], v[77:78], -v[23:24]
	v_add_f64_e64 v[67:68], v[79:80], -v[25:26]
	v_add_f64_e64 v[33:34], v[1:2], -v[27:28]
	v_add_f64_e64 v[31:32], v[43:44], -v[29:30]
	v_fma_f64 v[23:24], v[83:84], s[2:3], v[101:102]
	v_fma_f64 v[25:26], v[85:86], s[2:3], v[103:104]
	;; [unrolled: 1-line block ×4, first 2 shown]
	v_fma_f64 v[53:54], v[53:54], 2.0, -v[47:48]
	v_fma_f64 v[57:58], v[49:50], 2.0, -v[81:82]
	;; [unrolled: 1-line block ×4, first 2 shown]
	v_fma_f64 v[59:60], v[81:82], s[10:11], v[89:90]
	v_fma_f64 v[61:62], v[47:48], s[10:11], v[87:88]
	;; [unrolled: 1-line block ×6, first 2 shown]
	v_fma_f64 v[107:108], v[77:78], 2.0, -v[65:66]
	v_fma_f64 v[109:110], v[79:80], 2.0, -v[67:68]
	;; [unrolled: 1-line block ×4, first 2 shown]
	v_fma_f64 v[23:24], v[85:86], s[2:3], v[23:24]
	v_fma_f64 v[25:26], v[83:84], s[0:1], v[25:26]
	;; [unrolled: 1-line block ×4, first 2 shown]
	v_add_f64_e32 v[31:32], v[65:66], v[31:32]
	v_add_f64_e64 v[33:34], v[67:68], -v[33:34]
	v_fma_f64 v[77:78], v[53:54], s[6:7], v[99:100]
	v_fma_f64 v[79:80], v[57:58], s[6:7], v[105:106]
	v_fma_f64 v[43:44], v[81:82], s[14:15], v[61:62]
	v_fma_f64 v[35:36], v[35:36], s[2:3], v[37:38]
	v_fma_f64 v[37:38], v[39:40], s[0:1], v[41:42]
	v_fma_f64 v[39:40], v[55:56], s[14:15], v[45:46]
	v_fma_f64 v[41:42], v[51:52], s[6:7], v[49:50]
	v_fma_f64 v[45:46], v[47:48], s[6:7], v[59:60]
	v_add_f64_e64 v[47:48], v[107:108], -v[1:2]
	v_add_f64_e64 v[49:50], v[109:110], -v[69:70]
	v_fma_f64 v[55:56], v[101:102], 2.0, -v[23:24]
	v_or_b32_e32 v1, v20, v0
	v_fma_f64 v[59:60], v[75:76], 2.0, -v[27:28]
	v_fma_f64 v[61:62], v[73:74], 2.0, -v[29:30]
	;; [unrolled: 1-line block ×4, first 2 shown]
	v_mul_u32_u24_e32 v2, 15, v0
	v_and_b32_e32 v1, 0xf0f, v1
	s_delay_alu instid0(VALU_DEP_2) | instskip(NEXT) | instid1(VALU_DEP_2)
	v_lshlrev_b32_e32 v2, 4, v2
	v_lshl_add_u32 v1, v1, 4, 0
	v_fma_f64 v[51:52], v[57:58], s[10:11], v[77:78]
	v_fma_f64 v[53:54], v[53:54], s[12:13], v[79:80]
	v_fma_f64 v[57:58], v[103:104], 2.0, -v[25:26]
	v_fma_f64 v[75:76], v[87:88], 2.0, -v[43:44]
	;; [unrolled: 1-line block ×11, first 2 shown]
	ds_store_b128 v1, v[23:26] offset:3584
	ds_store_b128 v1, v[27:30] offset:3840
	;; [unrolled: 1-line block ×14, first 2 shown]
	ds_store_b128 v1, v[79:82]
	ds_store_b128 v1, v[83:86] offset:256
	global_wb scope:SCOPE_SE
	s_wait_dscnt 0x0
	s_barrier_signal -1
	s_barrier_wait -1
	global_inv scope:SCOPE_SE
	s_clause 0xe
	global_load_b128 v[23:26], v2, s[4:5] offset:3840
	global_load_b128 v[27:30], v2, s[4:5] offset:3856
	;; [unrolled: 1-line block ×15, first 2 shown]
	ds_load_b128 v[83:86], v21 offset:4096
	ds_load_b128 v[87:90], v21
	ds_load_b128 v[91:94], v21 offset:8192
	ds_load_b128 v[95:98], v21 offset:12288
	s_wait_loadcnt_dscnt 0xe03
	v_mul_f64_e32 v[1:2], v[85:86], v[25:26]
	v_mul_f64_e32 v[25:26], v[83:84], v[25:26]
	s_wait_loadcnt_dscnt 0xd01
	v_mul_f64_e32 v[99:100], v[93:94], v[29:30]
	v_mul_f64_e32 v[29:30], v[91:92], v[29:30]
	;; [unrolled: 3-line block ×3, first 2 shown]
	v_fma_f64 v[1:2], v[83:84], v[23:24], v[1:2]
	v_fma_f64 v[103:104], v[85:86], v[23:24], -v[25:26]
	ds_load_b128 v[23:26], v21 offset:16384
	ds_load_b128 v[83:86], v21 offset:20480
	v_fma_f64 v[91:92], v[91:92], v[27:28], v[99:100]
	v_fma_f64 v[93:94], v[93:94], v[27:28], -v[29:30]
	v_fma_f64 v[95:96], v[95:96], v[31:32], v[101:102]
	v_fma_f64 v[97:98], v[97:98], v[31:32], -v[33:34]
	ds_load_b128 v[27:30], v21 offset:24576
	ds_load_b128 v[31:34], v21 offset:28672
	s_wait_loadcnt_dscnt 0xb03
	v_mul_f64_e32 v[105:106], v[25:26], v[37:38]
	v_mul_f64_e32 v[37:38], v[23:24], v[37:38]
	s_wait_loadcnt_dscnt 0xa02
	v_mul_f64_e32 v[99:100], v[85:86], v[41:42]
	v_mul_f64_e32 v[41:42], v[83:84], v[41:42]
	;; [unrolled: 3-line block ×4, first 2 shown]
	v_fma_f64 v[105:106], v[23:24], v[35:36], v[105:106]
	v_fma_f64 v[107:108], v[25:26], v[35:36], -v[37:38]
	ds_load_b128 v[23:26], v21 offset:32768
	ds_load_b128 v[35:38], v21 offset:36864
	v_fma_f64 v[83:84], v[83:84], v[39:40], v[99:100]
	v_fma_f64 v[39:40], v[85:86], v[39:40], -v[41:42]
	v_fma_f64 v[85:86], v[27:28], v[43:44], v[101:102]
	v_fma_f64 v[43:44], v[29:30], v[43:44], -v[45:46]
	;; [unrolled: 2-line block ×3, first 2 shown]
	ds_load_b128 v[27:30], v21 offset:40960
	ds_load_b128 v[31:34], v21 offset:45056
	s_wait_loadcnt_dscnt 0x703
	v_mul_f64_e32 v[41:42], v[25:26], v[53:54]
	v_mul_f64_e32 v[45:46], v[23:24], v[53:54]
	s_wait_loadcnt_dscnt 0x602
	v_mul_f64_e32 v[53:54], v[37:38], v[57:58]
	v_mul_f64_e32 v[49:50], v[35:36], v[57:58]
	s_wait_loadcnt_dscnt 0x501
	v_mul_f64_e32 v[57:58], v[29:30], v[61:62]
	v_fma_f64 v[41:42], v[23:24], v[51:52], v[41:42]
	v_fma_f64 v[45:46], v[25:26], v[51:52], -v[45:46]
	ds_load_b128 v[23:26], v21 offset:49152
	v_mul_f64_e32 v[51:52], v[27:28], v[61:62]
	v_fma_f64 v[53:54], v[35:36], v[55:56], v[53:54]
	v_fma_f64 v[49:50], v[37:38], v[55:56], -v[49:50]
	ds_load_b128 v[35:38], v21 offset:53248
	v_fma_f64 v[57:58], v[27:28], v[59:60], v[57:58]
	s_wait_loadcnt_dscnt 0x401
	v_mul_f64_e32 v[55:56], v[25:26], v[65:66]
	v_mul_f64_e32 v[61:62], v[23:24], v[65:66]
	s_wait_loadcnt_dscnt 0x300
	v_mul_f64_e32 v[65:66], v[35:36], v[69:70]
	v_add_f64_e64 v[41:42], v[87:88], -v[41:42]
	v_add_f64_e64 v[45:46], v[89:90], -v[45:46]
	v_fma_f64 v[51:52], v[29:30], v[59:60], -v[51:52]
	v_mul_f64_e32 v[59:60], v[37:38], v[69:70]
	ds_load_b128 v[27:30], v21 offset:61440
	v_add_f64_e64 v[53:54], v[1:2], -v[53:54]
	v_add_f64_e64 v[49:50], v[103:104], -v[49:50]
	;; [unrolled: 1-line block ×3, first 2 shown]
	v_fma_f64 v[55:56], v[23:24], v[63:64], v[55:56]
	v_fma_f64 v[61:62], v[25:26], v[63:64], -v[61:62]
	ds_load_b128 v[23:26], v21 offset:57344
	s_wait_loadcnt 0x2
	v_mul_f64_e32 v[63:64], v[33:34], v[73:74]
	s_wait_loadcnt_dscnt 0x101
	v_mul_f64_e32 v[69:70], v[27:28], v[77:78]
	v_mul_f64_e32 v[73:74], v[31:32], v[73:74]
	v_fma_f64 v[37:38], v[37:38], v[67:68], -v[65:66]
	global_wb scope:SCOPE_SE
	s_wait_loadcnt_dscnt 0x0
	s_barrier_signal -1
	s_barrier_wait -1
	global_inv scope:SCOPE_SE
	v_add_f64_e64 v[51:52], v[93:94], -v[51:52]
	v_fma_f64 v[35:36], v[35:36], v[67:68], v[59:60]
	v_mul_f64_e32 v[59:60], v[29:30], v[77:78]
	v_mul_f64_e32 v[65:66], v[23:24], v[81:82]
	;; [unrolled: 1-line block ×3, first 2 shown]
	v_fma_f64 v[77:78], v[87:88], 2.0, -v[41:42]
	v_fma_f64 v[81:82], v[91:92], 2.0, -v[57:58]
	;; [unrolled: 1-line block ×3, first 2 shown]
	v_add_f64_e64 v[55:56], v[105:106], -v[55:56]
	v_fma_f64 v[31:32], v[31:32], v[71:72], v[63:64]
	v_fma_f64 v[29:30], v[29:30], v[75:76], -v[69:70]
	v_fma_f64 v[33:34], v[33:34], v[71:72], -v[73:74]
	v_add_f64_e64 v[37:38], v[39:40], -v[37:38]
	v_fma_f64 v[87:88], v[93:94], 2.0, -v[51:52]
	v_add_f64_e64 v[35:36], v[83:84], -v[35:36]
	v_fma_f64 v[27:28], v[27:28], v[75:76], v[59:60]
	v_fma_f64 v[25:26], v[25:26], v[79:80], -v[65:66]
	v_fma_f64 v[23:24], v[23:24], v[79:80], v[67:68]
	v_add_f64_e64 v[59:60], v[107:108], -v[61:62]
	v_fma_f64 v[79:80], v[89:90], 2.0, -v[45:46]
	v_add_f64_e64 v[67:68], v[45:46], -v[55:56]
	v_fma_f64 v[55:56], v[105:106], 2.0, -v[55:56]
	v_add_f64_e64 v[31:32], v[95:96], -v[31:32]
	v_add_f64_e64 v[29:30], v[47:48], -v[29:30]
	;; [unrolled: 1-line block ×3, first 2 shown]
	v_add_f64_e32 v[61:62], v[53:54], v[37:38]
	v_fma_f64 v[37:38], v[39:40], 2.0, -v[37:38]
	v_add_f64_e64 v[69:70], v[49:50], -v[35:36]
	v_add_f64_e64 v[27:28], v[99:100], -v[27:28]
	;; [unrolled: 1-line block ×4, first 2 shown]
	v_add_f64_e32 v[65:66], v[41:42], v[59:60]
	v_fma_f64 v[59:60], v[107:108], 2.0, -v[59:60]
	v_fma_f64 v[35:36], v[83:84], 2.0, -v[35:36]
	;; [unrolled: 1-line block ×3, first 2 shown]
	v_add_f64_e64 v[55:56], v[77:78], -v[55:56]
	v_fma_f64 v[39:40], v[95:96], 2.0, -v[31:32]
	v_add_f64_e32 v[63:64], v[31:32], v[29:30]
	v_fma_f64 v[83:84], v[97:98], 2.0, -v[33:34]
	v_fma_f64 v[29:30], v[47:48], 2.0, -v[29:30]
	;; [unrolled: 1-line block ×3, first 2 shown]
	v_add_f64_e64 v[71:72], v[33:34], -v[27:28]
	v_add_f64_e32 v[73:74], v[57:58], v[25:26]
	v_add_f64_e64 v[75:76], v[51:52], -v[23:24]
	v_fma_f64 v[23:24], v[85:86], 2.0, -v[23:24]
	v_fma_f64 v[25:26], v[43:44], 2.0, -v[25:26]
	;; [unrolled: 1-line block ×6, first 2 shown]
	v_add_f64_e64 v[35:36], v[1:2], -v[35:36]
	v_fma_f64 v[77:78], v[77:78], 2.0, -v[55:56]
	v_fma_f64 v[31:32], v[31:32], 2.0, -v[63:64]
	v_add_f64_e64 v[29:30], v[83:84], -v[29:30]
	v_fma_f64 v[33:34], v[33:34], 2.0, -v[71:72]
	v_fma_f64 v[53:54], v[57:58], 2.0, -v[73:74]
	;; [unrolled: 1-line block ×3, first 2 shown]
	v_add_f64_e64 v[57:58], v[79:80], -v[59:60]
	v_add_f64_e64 v[23:24], v[81:82], -v[23:24]
	;; [unrolled: 1-line block ×5, first 2 shown]
	v_fma_f64 v[59:60], v[63:64], s[2:3], v[61:62]
	v_fma_f64 v[85:86], v[71:72], s[2:3], v[69:70]
	;; [unrolled: 1-line block ×4, first 2 shown]
	v_fma_f64 v[1:2], v[1:2], 2.0, -v[35:36]
	v_fma_f64 v[89:90], v[31:32], s[0:1], v[47:48]
	v_fma_f64 v[83:84], v[83:84], 2.0, -v[29:30]
	v_add_f64_e32 v[101:102], v[35:36], v[29:30]
	v_fma_f64 v[91:92], v[33:34], s[0:1], v[49:50]
	v_fma_f64 v[93:94], v[53:54], s[0:1], v[41:42]
	;; [unrolled: 1-line block ×3, first 2 shown]
	v_fma_f64 v[79:80], v[79:80], 2.0, -v[57:58]
	v_fma_f64 v[81:82], v[81:82], 2.0, -v[23:24]
	;; [unrolled: 1-line block ×5, first 2 shown]
	v_add_f64_e32 v[25:26], v[55:56], v[25:26]
	v_fma_f64 v[71:72], v[71:72], s[2:3], v[59:60]
	v_fma_f64 v[59:60], v[63:64], s[0:1], v[85:86]
	v_add_f64_e64 v[27:28], v[37:38], -v[27:28]
	v_add_f64_e64 v[23:24], v[57:58], -v[23:24]
	v_fma_f64 v[63:64], v[33:34], s[2:3], v[89:90]
	v_fma_f64 v[85:86], v[31:32], s[0:1], v[91:92]
	;; [unrolled: 1-line block ×6, first 2 shown]
	v_add_f64_e64 v[73:74], v[77:78], -v[81:82]
	v_add_f64_e64 v[75:76], v[79:80], -v[87:88]
	;; [unrolled: 1-line block ×4, first 2 shown]
	v_fma_f64 v[51:52], v[35:36], 2.0, -v[101:102]
	v_fma_f64 v[81:82], v[55:56], 2.0, -v[25:26]
	;; [unrolled: 1-line block ×6, first 2 shown]
	v_fma_f64 v[34:35], v[101:102], s[2:3], v[25:26]
	v_fma_f64 v[36:37], v[27:28], s[2:3], v[23:24]
	v_fma_f64 v[61:62], v[47:48], 2.0, -v[63:64]
	v_fma_f64 v[47:48], v[49:50], 2.0, -v[85:86]
	;; [unrolled: 1-line block ×10, first 2 shown]
	v_fma_f64 v[105:106], v[63:64], s[10:11], v[89:90]
	v_fma_f64 v[42:43], v[51:52], s[0:1], v[81:82]
	;; [unrolled: 1-line block ×6, first 2 shown]
	v_add_f64_e32 v[30:31], v[73:74], v[29:30]
	v_add_f64_e64 v[32:33], v[75:76], -v[32:33]
	v_fma_f64 v[34:35], v[27:28], s[2:3], v[34:35]
	v_fma_f64 v[36:37], v[101:102], s[0:1], v[36:37]
	v_lshl_add_u32 v29, v6, 4, 0
	v_lshl_add_u32 v28, v14, 4, 0
	;; [unrolled: 1-line block ×3, first 2 shown]
	v_fma_f64 v[49:50], v[61:62], s[6:7], v[87:88]
	v_fma_f64 v[65:66], v[47:48], s[6:7], v[97:98]
	v_fma_f64 v[67:68], v[55:56], s[12:13], v[99:100]
	v_fma_f64 v[69:70], v[57:58], s[12:13], v[103:104]
	v_add_f64_e64 v[38:39], v[77:78], -v[1:2]
	v_add_f64_e64 v[40:41], v[79:80], -v[40:41]
	v_lshl_add_u32 v1, v22, 4, 0
	v_fma_f64 v[42:43], v[53:54], s[2:3], v[42:43]
	v_lshl_add_u32 v2, v19, 4, 0
                                        ; implicit-def: $vgpr18_vgpr19
	v_fma_f64 v[44:45], v[51:52], s[0:1], v[44:45]
	v_cmp_ne_u32_e64 s0, 0, v0
	v_fma_f64 v[46:47], v[47:48], s[10:11], v[49:50]
	v_fma_f64 v[48:49], v[61:62], s[12:13], v[65:66]
	;; [unrolled: 1-line block ×8, first 2 shown]
	v_fma_f64 v[62:63], v[73:74], 2.0, -v[30:31]
	v_fma_f64 v[70:71], v[77:78], 2.0, -v[38:39]
	;; [unrolled: 1-line block ×8, first 2 shown]
	v_lshl_add_u32 v26, v12, 4, 0
	v_lshl_add_u32 v25, v11, 4, 0
	;; [unrolled: 1-line block ×4, first 2 shown]
	v_fma_f64 v[78:79], v[87:88], 2.0, -v[46:47]
	v_fma_f64 v[80:81], v[97:98], 2.0, -v[48:49]
	;; [unrolled: 1-line block ×8, first 2 shown]
	ds_store_b128 v21, v[70:73]
	ds_store_b128 v29, v[78:81]
	;; [unrolled: 1-line block ×16, first 2 shown]
	global_wb scope:SCOPE_SE
	s_wait_dscnt 0x0
	s_barrier_signal -1
	s_barrier_wait -1
	global_inv scope:SCOPE_SE
	ds_load_b128 v[1:4], v21
	v_sub_nc_u32_e32 v7, 0x1000, v0
                                        ; implicit-def: $vgpr16_vgpr17
	s_delay_alu instid0(VALU_DEP_1)
	v_lshl_add_u32 v22, v7, 4, 0
	s_and_saveexec_b32 s1, s0
	s_wait_alu 0xfffe
	s_xor_b32 s0, exec_lo, s1
	s_cbranch_execz .LBB0_15
; %bb.14:
	global_load_b128 v[30:33], v20, s[4:5] offset:65280
	ds_load_b128 v[15:18], v22
	s_wait_dscnt 0x0
	v_add_f64_e64 v[34:35], v[1:2], -v[15:16]
	v_add_f64_e32 v[36:37], v[3:4], v[17:18]
	v_add_f64_e64 v[3:4], v[3:4], -v[17:18]
	v_add_f64_e32 v[1:2], v[1:2], v[15:16]
	s_delay_alu instid0(VALU_DEP_4) | instskip(NEXT) | instid1(VALU_DEP_4)
	v_mul_f64_e32 v[17:18], 0.5, v[34:35]
	v_mul_f64_e32 v[34:35], 0.5, v[36:37]
	s_delay_alu instid0(VALU_DEP_4) | instskip(SKIP_1) | instid1(VALU_DEP_3)
	v_mul_f64_e32 v[3:4], 0.5, v[3:4]
	s_wait_loadcnt 0x0
	v_mul_f64_e32 v[15:16], v[17:18], v[32:33]
	s_delay_alu instid0(VALU_DEP_2) | instskip(SKIP_1) | instid1(VALU_DEP_3)
	v_fma_f64 v[36:37], v[34:35], v[32:33], v[3:4]
	v_fma_f64 v[3:4], v[34:35], v[32:33], -v[3:4]
	v_fma_f64 v[32:33], v[1:2], 0.5, v[15:16]
	v_fma_f64 v[1:2], v[1:2], 0.5, -v[15:16]
	s_delay_alu instid0(VALU_DEP_4) | instskip(NEXT) | instid1(VALU_DEP_4)
	v_fma_f64 v[36:37], -v[30:31], v[17:18], v[36:37]
	v_fma_f64 v[3:4], -v[30:31], v[17:18], v[3:4]
	ds_store_b64 v21, v[36:37] offset:8
	ds_store_b64 v22, v[3:4] offset:8
	v_fma_f64 v[16:17], v[34:35], v[30:31], v[32:33]
	v_fma_f64 v[18:19], -v[34:35], v[30:31], v[1:2]
                                        ; implicit-def: $vgpr1_vgpr2
.LBB0_15:
	s_wait_alu 0xfffe
	s_and_not1_saveexec_b32 s0, s0
	s_cbranch_execz .LBB0_17
; %bb.16:
	s_wait_dscnt 0x0
	v_add_f64_e32 v[16:17], v[1:2], v[3:4]
	v_add_f64_e64 v[18:19], v[1:2], -v[3:4]
	s_mov_b32 s2, 0
	v_mov_b32_e32 v3, 0
	s_wait_alu 0xfffe
	s_mov_b32 s3, s2
	s_wait_alu 0xfffe
	v_dual_mov_b32 v1, s2 :: v_dual_mov_b32 v2, s3
	ds_store_b64 v21, v[1:2] offset:8
	ds_store_b64 v22, v[1:2] offset:8
	ds_load_b64 v[1:2], v3 offset:32776
	s_wait_dscnt 0x0
	v_xor_b32_e32 v2, 0x80000000, v2
	ds_store_b64 v3, v[1:2] offset:32776
.LBB0_17:
	s_wait_alu 0xfffe
	s_or_b32 exec_lo, exec_lo, s0
	v_mov_b32_e32 v7, 0
	v_sub_nc_u32_e32 v40, 0, v20
	s_wait_dscnt 0x0
	s_delay_alu instid0(VALU_DEP_2) | instskip(SKIP_1) | instid1(VALU_DEP_2)
	v_lshlrev_b64_e32 v[1:2], 4, v[6:7]
	v_dual_mov_b32 v15, v7 :: v_dual_mov_b32 v6, v7
	v_add_co_u32 v1, s0, s4, v1
	s_wait_alu 0xf1ff
	s_delay_alu instid0(VALU_DEP_3) | instskip(NEXT) | instid1(VALU_DEP_3)
	v_add_co_ci_u32_e64 v2, s0, s5, v2, s0
	v_lshlrev_b64_e32 v[14:15], 4, v[14:15]
	v_lshlrev_b64_e32 v[5:6], 4, v[5:6]
	global_load_b128 v[1:4], v[1:2], off offset:65280
	v_add_co_u32 v14, s0, s4, v14
	s_wait_alu 0xf1ff
	v_add_co_ci_u32_e64 v15, s0, s5, v15, s0
	global_load_b128 v[30:33], v[14:15], off offset:65280
	ds_store_b64 v21, v[16:17]
	ds_store_b64 v22, v[18:19]
	ds_load_b128 v[14:17], v29
	ds_load_b128 v[34:37], v40 offset:61440
	s_wait_dscnt 0x0
	v_add_f64_e64 v[18:19], v[14:15], -v[34:35]
	v_add_f64_e32 v[38:39], v[16:17], v[36:37]
	v_add_f64_e64 v[16:17], v[16:17], -v[36:37]
	v_add_f64_e32 v[14:15], v[14:15], v[34:35]
	s_delay_alu instid0(VALU_DEP_4) | instskip(NEXT) | instid1(VALU_DEP_4)
	v_mul_f64_e32 v[18:19], 0.5, v[18:19]
	v_mul_f64_e32 v[36:37], 0.5, v[38:39]
	s_delay_alu instid0(VALU_DEP_4) | instskip(SKIP_1) | instid1(VALU_DEP_3)
	v_mul_f64_e32 v[16:17], 0.5, v[16:17]
	s_wait_loadcnt 0x1
	v_mul_f64_e32 v[34:35], v[18:19], v[3:4]
	s_delay_alu instid0(VALU_DEP_2) | instskip(SKIP_1) | instid1(VALU_DEP_3)
	v_fma_f64 v[38:39], v[36:37], v[3:4], v[16:17]
	v_fma_f64 v[3:4], v[36:37], v[3:4], -v[16:17]
	v_fma_f64 v[16:17], v[14:15], 0.5, v[34:35]
	v_fma_f64 v[14:15], v[14:15], 0.5, -v[34:35]
	s_delay_alu instid0(VALU_DEP_4) | instskip(NEXT) | instid1(VALU_DEP_4)
	v_fma_f64 v[34:35], -v[1:2], v[18:19], v[38:39]
	v_fma_f64 v[3:4], -v[1:2], v[18:19], v[3:4]
	s_delay_alu instid0(VALU_DEP_4) | instskip(NEXT) | instid1(VALU_DEP_4)
	v_fma_f64 v[18:19], v[36:37], v[1:2], v[16:17]
	v_fma_f64 v[1:2], -v[36:37], v[1:2], v[14:15]
	v_mov_b32_e32 v14, v7
	s_delay_alu instid0(VALU_DEP_1) | instskip(NEXT) | instid1(VALU_DEP_1)
	v_lshlrev_b64_e32 v[13:14], 4, v[13:14]
	v_add_co_u32 v13, s0, s4, v13
	s_wait_alu 0xf1ff
	s_delay_alu instid0(VALU_DEP_2)
	v_add_co_ci_u32_e64 v14, s0, s5, v14, s0
	global_load_b128 v[14:17], v[13:14], off offset:65280
	ds_store_2addr_b64 v29, v[18:19], v[34:35] offset1:1
	ds_store_b128 v40, v[1:4] offset:61440
	ds_load_b128 v[1:4], v28
	ds_load_b128 v[34:37], v40 offset:57344
	v_mov_b32_e32 v13, v7
	s_delay_alu instid0(VALU_DEP_1) | instskip(NEXT) | instid1(VALU_DEP_1)
	v_lshlrev_b64_e32 v[12:13], 4, v[12:13]
	v_add_co_u32 v12, s0, s4, v12
	s_wait_alu 0xf1ff
	s_delay_alu instid0(VALU_DEP_2)
	v_add_co_ci_u32_e64 v13, s0, s5, v13, s0
	s_wait_dscnt 0x0
	v_add_f64_e64 v[18:19], v[1:2], -v[34:35]
	v_add_f64_e32 v[38:39], v[3:4], v[36:37]
	v_add_f64_e64 v[3:4], v[3:4], -v[36:37]
	v_add_f64_e32 v[1:2], v[1:2], v[34:35]
	s_delay_alu instid0(VALU_DEP_4) | instskip(NEXT) | instid1(VALU_DEP_4)
	v_mul_f64_e32 v[18:19], 0.5, v[18:19]
	v_mul_f64_e32 v[36:37], 0.5, v[38:39]
	s_delay_alu instid0(VALU_DEP_4) | instskip(SKIP_1) | instid1(VALU_DEP_3)
	v_mul_f64_e32 v[3:4], 0.5, v[3:4]
	s_wait_loadcnt 0x1
	v_mul_f64_e32 v[34:35], v[18:19], v[32:33]
	s_delay_alu instid0(VALU_DEP_2) | instskip(SKIP_1) | instid1(VALU_DEP_3)
	v_fma_f64 v[38:39], v[36:37], v[32:33], v[3:4]
	v_fma_f64 v[3:4], v[36:37], v[32:33], -v[3:4]
	v_fma_f64 v[32:33], v[1:2], 0.5, v[34:35]
	v_fma_f64 v[1:2], v[1:2], 0.5, -v[34:35]
	s_delay_alu instid0(VALU_DEP_4) | instskip(NEXT) | instid1(VALU_DEP_4)
	v_fma_f64 v[34:35], -v[30:31], v[18:19], v[38:39]
	v_fma_f64 v[3:4], -v[30:31], v[18:19], v[3:4]
	s_delay_alu instid0(VALU_DEP_4) | instskip(NEXT) | instid1(VALU_DEP_4)
	v_fma_f64 v[18:19], v[36:37], v[30:31], v[32:33]
	v_fma_f64 v[1:2], -v[36:37], v[30:31], v[1:2]
	global_load_b128 v[29:32], v[12:13], off offset:65280
	ds_store_2addr_b64 v28, v[18:19], v[34:35] offset1:1
	ds_store_b128 v40, v[1:4] offset:57344
	ds_load_b128 v[1:4], v27
	ds_load_b128 v[33:36], v40 offset:53248
	s_wait_dscnt 0x0
	v_add_f64_e64 v[12:13], v[1:2], -v[33:34]
	v_add_f64_e32 v[18:19], v[3:4], v[35:36]
	v_add_f64_e64 v[3:4], v[3:4], -v[35:36]
	v_add_f64_e32 v[1:2], v[1:2], v[33:34]
	s_delay_alu instid0(VALU_DEP_4) | instskip(NEXT) | instid1(VALU_DEP_4)
	v_mul_f64_e32 v[12:13], 0.5, v[12:13]
	v_mul_f64_e32 v[18:19], 0.5, v[18:19]
	s_delay_alu instid0(VALU_DEP_4) | instskip(SKIP_1) | instid1(VALU_DEP_3)
	v_mul_f64_e32 v[3:4], 0.5, v[3:4]
	s_wait_loadcnt 0x1
	v_mul_f64_e32 v[33:34], v[12:13], v[16:17]
	s_delay_alu instid0(VALU_DEP_2) | instskip(SKIP_1) | instid1(VALU_DEP_3)
	v_fma_f64 v[35:36], v[18:19], v[16:17], v[3:4]
	v_fma_f64 v[3:4], v[18:19], v[16:17], -v[3:4]
	v_fma_f64 v[16:17], v[1:2], 0.5, v[33:34]
	v_fma_f64 v[1:2], v[1:2], 0.5, -v[33:34]
	s_delay_alu instid0(VALU_DEP_4) | instskip(NEXT) | instid1(VALU_DEP_4)
	v_fma_f64 v[33:34], -v[14:15], v[12:13], v[35:36]
	v_fma_f64 v[3:4], -v[14:15], v[12:13], v[3:4]
	v_mov_b32_e32 v12, v7
	s_delay_alu instid0(VALU_DEP_1) | instskip(NEXT) | instid1(VALU_DEP_1)
	v_lshlrev_b64_e32 v[11:12], 4, v[11:12]
	v_add_co_u32 v11, s0, s4, v11
	s_wait_alu 0xf1ff
	s_delay_alu instid0(VALU_DEP_2)
	v_add_co_ci_u32_e64 v12, s0, s5, v12, s0
	v_fma_f64 v[16:17], v[18:19], v[14:15], v[16:17]
	v_fma_f64 v[1:2], -v[18:19], v[14:15], v[1:2]
	global_load_b128 v[12:15], v[11:12], off offset:65280
	v_mov_b32_e32 v11, v7
	ds_store_2addr_b64 v27, v[16:17], v[33:34] offset1:1
	ds_store_b128 v40, v[1:4] offset:53248
	ds_load_b128 v[1:4], v26
	ds_load_b128 v[16:19], v40 offset:49152
	v_lshlrev_b64_e32 v[10:11], 4, v[10:11]
	s_delay_alu instid0(VALU_DEP_1) | instskip(SKIP_1) | instid1(VALU_DEP_2)
	v_add_co_u32 v10, s0, s4, v10
	s_wait_alu 0xf1ff
	v_add_co_ci_u32_e64 v11, s0, s5, v11, s0
	v_add_co_u32 v5, s0, s4, v5
	s_wait_alu 0xf1ff
	v_add_co_ci_u32_e64 v6, s0, s5, v6, s0
	s_wait_dscnt 0x0
	v_add_f64_e64 v[27:28], v[1:2], -v[16:17]
	v_add_f64_e32 v[33:34], v[3:4], v[18:19]
	v_add_f64_e64 v[3:4], v[3:4], -v[18:19]
	v_add_f64_e32 v[1:2], v[1:2], v[16:17]
	s_delay_alu instid0(VALU_DEP_4) | instskip(NEXT) | instid1(VALU_DEP_4)
	v_mul_f64_e32 v[18:19], 0.5, v[27:28]
	v_mul_f64_e32 v[27:28], 0.5, v[33:34]
	s_delay_alu instid0(VALU_DEP_4) | instskip(SKIP_1) | instid1(VALU_DEP_3)
	v_mul_f64_e32 v[3:4], 0.5, v[3:4]
	s_wait_loadcnt 0x1
	v_mul_f64_e32 v[16:17], v[18:19], v[31:32]
	s_delay_alu instid0(VALU_DEP_2) | instskip(SKIP_1) | instid1(VALU_DEP_3)
	v_fma_f64 v[33:34], v[27:28], v[31:32], v[3:4]
	v_fma_f64 v[3:4], v[27:28], v[31:32], -v[3:4]
	v_fma_f64 v[31:32], v[1:2], 0.5, v[16:17]
	v_fma_f64 v[1:2], v[1:2], 0.5, -v[16:17]
	s_delay_alu instid0(VALU_DEP_4) | instskip(NEXT) | instid1(VALU_DEP_4)
	v_fma_f64 v[33:34], -v[29:30], v[18:19], v[33:34]
	v_fma_f64 v[3:4], -v[29:30], v[18:19], v[3:4]
	global_load_b128 v[16:19], v[10:11], off offset:65280
	v_fma_f64 v[31:32], v[27:28], v[29:30], v[31:32]
	v_fma_f64 v[1:2], -v[27:28], v[29:30], v[1:2]
	ds_store_2addr_b64 v26, v[31:32], v[33:34] offset1:1
	ds_store_b128 v40, v[1:4] offset:49152
	ds_load_b128 v[1:4], v25
	ds_load_b128 v[26:29], v40 offset:45056
	s_wait_dscnt 0x0
	v_add_f64_e64 v[10:11], v[1:2], -v[26:27]
	v_add_f64_e32 v[30:31], v[3:4], v[28:29]
	v_add_f64_e64 v[3:4], v[3:4], -v[28:29]
	v_add_f64_e32 v[1:2], v[1:2], v[26:27]
	s_delay_alu instid0(VALU_DEP_4) | instskip(NEXT) | instid1(VALU_DEP_4)
	v_mul_f64_e32 v[10:11], 0.5, v[10:11]
	v_mul_f64_e32 v[28:29], 0.5, v[30:31]
	s_delay_alu instid0(VALU_DEP_4) | instskip(SKIP_1) | instid1(VALU_DEP_3)
	v_mul_f64_e32 v[3:4], 0.5, v[3:4]
	s_wait_loadcnt 0x1
	v_mul_f64_e32 v[26:27], v[10:11], v[14:15]
	s_delay_alu instid0(VALU_DEP_2) | instskip(SKIP_1) | instid1(VALU_DEP_3)
	v_fma_f64 v[30:31], v[28:29], v[14:15], v[3:4]
	v_fma_f64 v[3:4], v[28:29], v[14:15], -v[3:4]
	v_fma_f64 v[14:15], v[1:2], 0.5, v[26:27]
	v_fma_f64 v[1:2], v[1:2], 0.5, -v[26:27]
	s_delay_alu instid0(VALU_DEP_4) | instskip(NEXT) | instid1(VALU_DEP_4)
	v_fma_f64 v[26:27], -v[12:13], v[10:11], v[30:31]
	v_fma_f64 v[3:4], -v[12:13], v[10:11], v[3:4]
	s_delay_alu instid0(VALU_DEP_4) | instskip(NEXT) | instid1(VALU_DEP_4)
	v_fma_f64 v[14:15], v[28:29], v[12:13], v[14:15]
	v_fma_f64 v[1:2], -v[28:29], v[12:13], v[1:2]
	global_load_b128 v[10:13], v[5:6], off offset:65280
	ds_store_2addr_b64 v25, v[14:15], v[26:27] offset1:1
	ds_store_b128 v40, v[1:4] offset:45056
	ds_load_b128 v[1:4], v24
	ds_load_b128 v[25:28], v40 offset:40960
	s_wait_dscnt 0x0
	v_add_f64_e64 v[5:6], v[1:2], -v[25:26]
	v_add_f64_e32 v[14:15], v[3:4], v[27:28]
	v_add_f64_e64 v[3:4], v[3:4], -v[27:28]
	v_add_f64_e32 v[1:2], v[1:2], v[25:26]
	s_delay_alu instid0(VALU_DEP_4) | instskip(NEXT) | instid1(VALU_DEP_4)
	v_mul_f64_e32 v[5:6], 0.5, v[5:6]
	v_mul_f64_e32 v[14:15], 0.5, v[14:15]
	s_delay_alu instid0(VALU_DEP_4) | instskip(SKIP_1) | instid1(VALU_DEP_3)
	v_mul_f64_e32 v[3:4], 0.5, v[3:4]
	s_wait_loadcnt 0x1
	v_mul_f64_e32 v[25:26], v[5:6], v[18:19]
	s_delay_alu instid0(VALU_DEP_2) | instskip(SKIP_1) | instid1(VALU_DEP_3)
	v_fma_f64 v[27:28], v[14:15], v[18:19], v[3:4]
	v_fma_f64 v[3:4], v[14:15], v[18:19], -v[3:4]
	v_fma_f64 v[18:19], v[1:2], 0.5, v[25:26]
	v_fma_f64 v[1:2], v[1:2], 0.5, -v[25:26]
	s_delay_alu instid0(VALU_DEP_4) | instskip(NEXT) | instid1(VALU_DEP_4)
	v_fma_f64 v[25:26], -v[16:17], v[5:6], v[27:28]
	v_fma_f64 v[3:4], -v[16:17], v[5:6], v[3:4]
	s_delay_alu instid0(VALU_DEP_4) | instskip(NEXT) | instid1(VALU_DEP_4)
	v_fma_f64 v[5:6], v[14:15], v[16:17], v[18:19]
	v_fma_f64 v[1:2], -v[14:15], v[16:17], v[1:2]
	ds_store_2addr_b64 v24, v[5:6], v[25:26] offset1:1
	ds_store_b128 v40, v[1:4] offset:40960
	ds_load_b128 v[1:4], v23
	ds_load_b128 v[14:17], v40 offset:36864
	s_wait_dscnt 0x0
	v_add_f64_e64 v[5:6], v[1:2], -v[14:15]
	v_add_f64_e32 v[18:19], v[3:4], v[16:17]
	v_add_f64_e64 v[3:4], v[3:4], -v[16:17]
	v_add_f64_e32 v[1:2], v[1:2], v[14:15]
	s_delay_alu instid0(VALU_DEP_4) | instskip(NEXT) | instid1(VALU_DEP_4)
	v_mul_f64_e32 v[5:6], 0.5, v[5:6]
	v_mul_f64_e32 v[16:17], 0.5, v[18:19]
	s_delay_alu instid0(VALU_DEP_4) | instskip(SKIP_1) | instid1(VALU_DEP_3)
	v_mul_f64_e32 v[3:4], 0.5, v[3:4]
	s_wait_loadcnt 0x0
	v_mul_f64_e32 v[14:15], v[5:6], v[12:13]
	s_delay_alu instid0(VALU_DEP_2) | instskip(SKIP_1) | instid1(VALU_DEP_3)
	v_fma_f64 v[18:19], v[16:17], v[12:13], v[3:4]
	v_fma_f64 v[3:4], v[16:17], v[12:13], -v[3:4]
	v_fma_f64 v[12:13], v[1:2], 0.5, v[14:15]
	v_fma_f64 v[1:2], v[1:2], 0.5, -v[14:15]
	s_delay_alu instid0(VALU_DEP_4) | instskip(NEXT) | instid1(VALU_DEP_4)
	v_fma_f64 v[14:15], -v[10:11], v[5:6], v[18:19]
	v_fma_f64 v[3:4], -v[10:11], v[5:6], v[3:4]
	s_delay_alu instid0(VALU_DEP_4) | instskip(NEXT) | instid1(VALU_DEP_4)
	v_fma_f64 v[5:6], v[16:17], v[10:11], v[12:13]
	v_fma_f64 v[1:2], -v[16:17], v[10:11], v[1:2]
	ds_store_2addr_b64 v23, v[5:6], v[14:15] offset1:1
	ds_store_b128 v40, v[1:4] offset:36864
	global_wb scope:SCOPE_SE
	s_wait_dscnt 0x0
	s_barrier_signal -1
	s_barrier_wait -1
	global_inv scope:SCOPE_SE
	s_and_saveexec_b32 s0, vcc_lo
	s_cbranch_execz .LBB0_20
; %bb.18:
	ds_load_b128 v[3:6], v21
	ds_load_b128 v[10:13], v21 offset:4096
	v_add_co_u32 v1, vcc_lo, s8, v8
	s_wait_alu 0xfffd
	v_add_co_ci_u32_e32 v2, vcc_lo, s9, v9, vcc_lo
	ds_load_b128 v[14:17], v21 offset:8192
	ds_load_b128 v[22:25], v21 offset:16384
	v_or_b32_e32 v7, 0x3000, v20
	v_add_co_u32 v54, vcc_lo, v1, v20
	v_or_b32_e32 v19, 0x7000, v20
	s_wait_alu 0xfffd
	v_add_co_ci_u32_e32 v55, vcc_lo, 0, v2, vcc_lo
	v_add_nc_u32_e32 v18, 0, v7
	v_add_co_u32 v56, vcc_lo, v1, v7
	v_add_nc_u32_e32 v30, 0, v19
	v_or_b32_e32 v58, 0xb000, v20
	v_or_b32_e32 v59, 0xf000, v20
	s_wait_alu 0xfffd
	v_add_co_ci_u32_e32 v57, vcc_lo, 0, v2, vcc_lo
	s_wait_dscnt 0x3
	global_store_b128 v[54:55], v[3:6], off
	s_wait_dscnt 0x2
	global_store_b128 v[54:55], v[10:13], off offset:4096
	ds_load_b128 v[3:6], v21 offset:20480
	ds_load_b128 v[7:10], v21 offset:24576
	ds_load_b128 v[26:29], v18
	ds_load_b128 v[30:33], v30
	ds_load_b128 v[34:37], v21 offset:32768
	ds_load_b128 v[38:41], v21 offset:36864
	v_add_nc_u32_e32 v46, 0, v58
	v_add_nc_u32_e32 v50, 0, v59
	s_wait_dscnt 0x7
	global_store_b128 v[54:55], v[14:17], off offset:8192
	s_wait_dscnt 0x6
	global_store_b128 v[54:55], v[22:25], off offset:16384
	ds_load_b128 v[11:14], v21 offset:40960
	ds_load_b128 v[15:18], v21 offset:49152
	;; [unrolled: 1-line block ×4, first 2 shown]
	ds_load_b128 v[46:49], v46
	ds_load_b128 v[50:53], v50
	v_add_co_u32 v19, vcc_lo, v1, v19
	s_wait_alu 0xfffd
	v_add_co_ci_u32_e32 v20, vcc_lo, 0, v2, vcc_lo
	s_wait_dscnt 0xb
	global_store_b128 v[54:55], v[3:6], off offset:20480
	s_wait_dscnt 0xa
	global_store_b128 v[54:55], v[7:10], off offset:24576
	s_wait_dscnt 0x9
	global_store_b128 v[56:57], v[26:29], off
	s_wait_dscnt 0x8
	global_store_b128 v[19:20], v[30:33], off
	s_wait_dscnt 0x7
	global_store_b128 v[54:55], v[34:37], off offset:32768
	s_wait_dscnt 0x6
	global_store_b128 v[54:55], v[38:41], off offset:36864
	v_add_co_u32 v3, vcc_lo, v1, v58
	s_wait_alu 0xfffd
	v_add_co_ci_u32_e32 v4, vcc_lo, 0, v2, vcc_lo
	v_add_co_u32 v5, vcc_lo, v1, v59
	s_wait_alu 0xfffd
	v_add_co_ci_u32_e32 v6, vcc_lo, 0, v2, vcc_lo
	v_cmp_eq_u32_e32 vcc_lo, 0xff, v0
	s_wait_dscnt 0x5
	global_store_b128 v[54:55], v[11:14], off offset:40960
	s_wait_dscnt 0x4
	global_store_b128 v[54:55], v[15:18], off offset:49152
	;; [unrolled: 2-line block ×4, first 2 shown]
	s_wait_dscnt 0x1
	global_store_b128 v[3:4], v[46:49], off
	s_wait_dscnt 0x0
	global_store_b128 v[5:6], v[50:53], off
	s_and_b32 exec_lo, exec_lo, vcc_lo
	s_cbranch_execz .LBB0_20
; %bb.19:
	s_add_co_i32 s0, 0, 0x10000
	s_wait_alu 0xf1fe
	v_mov_b32_e32 v0, s0
	ds_load_b128 v[3:6], v0
	s_wait_dscnt 0x0
	global_store_b128 v[1:2], v[3:6], off offset:65536
.LBB0_20:
	s_nop 0
	s_sendmsg sendmsg(MSG_DEALLOC_VGPRS)
	s_endpgm
	.section	.rodata,"a",@progbits
	.p2align	6, 0x0
	.amdhsa_kernel fft_rtc_back_len4096_factors_16_16_16_wgs_256_tpt_256_halfLds_dp_ip_CI_unitstride_sbrr_R2C_dirReg
		.amdhsa_group_segment_fixed_size 0
		.amdhsa_private_segment_fixed_size 0
		.amdhsa_kernarg_size 88
		.amdhsa_user_sgpr_count 2
		.amdhsa_user_sgpr_dispatch_ptr 0
		.amdhsa_user_sgpr_queue_ptr 0
		.amdhsa_user_sgpr_kernarg_segment_ptr 1
		.amdhsa_user_sgpr_dispatch_id 0
		.amdhsa_user_sgpr_private_segment_size 0
		.amdhsa_wavefront_size32 1
		.amdhsa_uses_dynamic_stack 0
		.amdhsa_enable_private_segment 0
		.amdhsa_system_sgpr_workgroup_id_x 1
		.amdhsa_system_sgpr_workgroup_id_y 0
		.amdhsa_system_sgpr_workgroup_id_z 0
		.amdhsa_system_sgpr_workgroup_info 0
		.amdhsa_system_vgpr_workitem_id 0
		.amdhsa_next_free_vgpr 117
		.amdhsa_next_free_sgpr 32
		.amdhsa_reserve_vcc 1
		.amdhsa_float_round_mode_32 0
		.amdhsa_float_round_mode_16_64 0
		.amdhsa_float_denorm_mode_32 3
		.amdhsa_float_denorm_mode_16_64 3
		.amdhsa_fp16_overflow 0
		.amdhsa_workgroup_processor_mode 1
		.amdhsa_memory_ordered 1
		.amdhsa_forward_progress 0
		.amdhsa_round_robin_scheduling 0
		.amdhsa_exception_fp_ieee_invalid_op 0
		.amdhsa_exception_fp_denorm_src 0
		.amdhsa_exception_fp_ieee_div_zero 0
		.amdhsa_exception_fp_ieee_overflow 0
		.amdhsa_exception_fp_ieee_underflow 0
		.amdhsa_exception_fp_ieee_inexact 0
		.amdhsa_exception_int_div_zero 0
	.end_amdhsa_kernel
	.text
.Lfunc_end0:
	.size	fft_rtc_back_len4096_factors_16_16_16_wgs_256_tpt_256_halfLds_dp_ip_CI_unitstride_sbrr_R2C_dirReg, .Lfunc_end0-fft_rtc_back_len4096_factors_16_16_16_wgs_256_tpt_256_halfLds_dp_ip_CI_unitstride_sbrr_R2C_dirReg
                                        ; -- End function
	.section	.AMDGPU.csdata,"",@progbits
; Kernel info:
; codeLenInByte = 10496
; NumSgprs: 34
; NumVgprs: 117
; ScratchSize: 0
; MemoryBound: 0
; FloatMode: 240
; IeeeMode: 1
; LDSByteSize: 0 bytes/workgroup (compile time only)
; SGPRBlocks: 4
; VGPRBlocks: 14
; NumSGPRsForWavesPerEU: 34
; NumVGPRsForWavesPerEU: 117
; Occupancy: 12
; WaveLimiterHint : 1
; COMPUTE_PGM_RSRC2:SCRATCH_EN: 0
; COMPUTE_PGM_RSRC2:USER_SGPR: 2
; COMPUTE_PGM_RSRC2:TRAP_HANDLER: 0
; COMPUTE_PGM_RSRC2:TGID_X_EN: 1
; COMPUTE_PGM_RSRC2:TGID_Y_EN: 0
; COMPUTE_PGM_RSRC2:TGID_Z_EN: 0
; COMPUTE_PGM_RSRC2:TIDIG_COMP_CNT: 0
	.text
	.p2alignl 7, 3214868480
	.fill 96, 4, 3214868480
	.type	__hip_cuid_c9819a66282a4d05,@object ; @__hip_cuid_c9819a66282a4d05
	.section	.bss,"aw",@nobits
	.globl	__hip_cuid_c9819a66282a4d05
__hip_cuid_c9819a66282a4d05:
	.byte	0                               ; 0x0
	.size	__hip_cuid_c9819a66282a4d05, 1

	.ident	"AMD clang version 19.0.0git (https://github.com/RadeonOpenCompute/llvm-project roc-6.4.0 25133 c7fe45cf4b819c5991fe208aaa96edf142730f1d)"
	.section	".note.GNU-stack","",@progbits
	.addrsig
	.addrsig_sym __hip_cuid_c9819a66282a4d05
	.amdgpu_metadata
---
amdhsa.kernels:
  - .args:
      - .actual_access:  read_only
        .address_space:  global
        .offset:         0
        .size:           8
        .value_kind:     global_buffer
      - .offset:         8
        .size:           8
        .value_kind:     by_value
      - .actual_access:  read_only
        .address_space:  global
        .offset:         16
        .size:           8
        .value_kind:     global_buffer
      - .actual_access:  read_only
        .address_space:  global
        .offset:         24
        .size:           8
        .value_kind:     global_buffer
      - .offset:         32
        .size:           8
        .value_kind:     by_value
      - .actual_access:  read_only
        .address_space:  global
        .offset:         40
        .size:           8
        .value_kind:     global_buffer
      - .actual_access:  read_only
        .address_space:  global
        .offset:         48
        .size:           8
        .value_kind:     global_buffer
      - .offset:         56
        .size:           4
        .value_kind:     by_value
      - .actual_access:  read_only
        .address_space:  global
        .offset:         64
        .size:           8
        .value_kind:     global_buffer
      - .actual_access:  read_only
        .address_space:  global
        .offset:         72
        .size:           8
        .value_kind:     global_buffer
      - .address_space:  global
        .offset:         80
        .size:           8
        .value_kind:     global_buffer
    .group_segment_fixed_size: 0
    .kernarg_segment_align: 8
    .kernarg_segment_size: 88
    .language:       OpenCL C
    .language_version:
      - 2
      - 0
    .max_flat_workgroup_size: 256
    .name:           fft_rtc_back_len4096_factors_16_16_16_wgs_256_tpt_256_halfLds_dp_ip_CI_unitstride_sbrr_R2C_dirReg
    .private_segment_fixed_size: 0
    .sgpr_count:     34
    .sgpr_spill_count: 0
    .symbol:         fft_rtc_back_len4096_factors_16_16_16_wgs_256_tpt_256_halfLds_dp_ip_CI_unitstride_sbrr_R2C_dirReg.kd
    .uniform_work_group_size: 1
    .uses_dynamic_stack: false
    .vgpr_count:     117
    .vgpr_spill_count: 0
    .wavefront_size: 32
    .workgroup_processor_mode: 1
amdhsa.target:   amdgcn-amd-amdhsa--gfx1201
amdhsa.version:
  - 1
  - 2
...

	.end_amdgpu_metadata
